;; amdgpu-corpus repo=ROCm/rocFFT kind=compiled arch=gfx906 opt=O3
	.text
	.amdgcn_target "amdgcn-amd-amdhsa--gfx906"
	.amdhsa_code_object_version 6
	.protected	fft_rtc_fwd_len286_factors_13_11_2_wgs_52_tpt_26_sp_ip_CI_unitstride_sbrr_dirReg ; -- Begin function fft_rtc_fwd_len286_factors_13_11_2_wgs_52_tpt_26_sp_ip_CI_unitstride_sbrr_dirReg
	.globl	fft_rtc_fwd_len286_factors_13_11_2_wgs_52_tpt_26_sp_ip_CI_unitstride_sbrr_dirReg
	.p2align	8
	.type	fft_rtc_fwd_len286_factors_13_11_2_wgs_52_tpt_26_sp_ip_CI_unitstride_sbrr_dirReg,@function
fft_rtc_fwd_len286_factors_13_11_2_wgs_52_tpt_26_sp_ip_CI_unitstride_sbrr_dirReg: ; @fft_rtc_fwd_len286_factors_13_11_2_wgs_52_tpt_26_sp_ip_CI_unitstride_sbrr_dirReg
; %bb.0:
	s_load_dwordx2 s[12:13], s[4:5], 0x50
	s_load_dwordx4 s[8:11], s[4:5], 0x0
	s_load_dwordx2 s[2:3], s[4:5], 0x18
	v_mul_u32_u24_e32 v1, 0x9d9, v0
	v_lshrrev_b32_e32 v9, 16, v1
	v_mov_b32_e32 v3, 0
	s_waitcnt lgkmcnt(0)
	v_cmp_lt_u64_e64 s[0:1], s[10:11], 2
	v_mov_b32_e32 v1, 0
	v_lshl_add_u32 v5, s6, 1, v9
	v_mov_b32_e32 v6, v3
	s_and_b64 vcc, exec, s[0:1]
	v_mov_b32_e32 v2, 0
	s_cbranch_vccnz .LBB0_8
; %bb.1:
	s_load_dwordx2 s[0:1], s[4:5], 0x10
	s_add_u32 s6, s2, 8
	s_addc_u32 s7, s3, 0
	v_mov_b32_e32 v1, 0
	v_mov_b32_e32 v2, 0
	s_waitcnt lgkmcnt(0)
	s_add_u32 s14, s0, 8
	s_addc_u32 s15, s1, 0
	s_mov_b64 s[16:17], 1
.LBB0_2:                                ; =>This Inner Loop Header: Depth=1
	s_load_dwordx2 s[18:19], s[14:15], 0x0
                                        ; implicit-def: $vgpr7_vgpr8
	s_waitcnt lgkmcnt(0)
	v_or_b32_e32 v4, s19, v6
	v_cmp_ne_u64_e32 vcc, 0, v[3:4]
	s_and_saveexec_b64 s[0:1], vcc
	s_xor_b64 s[20:21], exec, s[0:1]
	s_cbranch_execz .LBB0_4
; %bb.3:                                ;   in Loop: Header=BB0_2 Depth=1
	v_cvt_f32_u32_e32 v4, s18
	v_cvt_f32_u32_e32 v7, s19
	s_sub_u32 s0, 0, s18
	s_subb_u32 s1, 0, s19
	v_mac_f32_e32 v4, 0x4f800000, v7
	v_rcp_f32_e32 v4, v4
	v_mul_f32_e32 v4, 0x5f7ffffc, v4
	v_mul_f32_e32 v7, 0x2f800000, v4
	v_trunc_f32_e32 v7, v7
	v_mac_f32_e32 v4, 0xcf800000, v7
	v_cvt_u32_f32_e32 v7, v7
	v_cvt_u32_f32_e32 v4, v4
	v_mul_lo_u32 v8, s0, v7
	v_mul_hi_u32 v10, s0, v4
	v_mul_lo_u32 v12, s1, v4
	v_mul_lo_u32 v11, s0, v4
	v_add_u32_e32 v8, v10, v8
	v_add_u32_e32 v8, v8, v12
	v_mul_hi_u32 v10, v4, v11
	v_mul_lo_u32 v12, v4, v8
	v_mul_hi_u32 v14, v4, v8
	v_mul_hi_u32 v13, v7, v11
	v_mul_lo_u32 v11, v7, v11
	v_mul_hi_u32 v15, v7, v8
	v_add_co_u32_e32 v10, vcc, v10, v12
	v_addc_co_u32_e32 v12, vcc, 0, v14, vcc
	v_mul_lo_u32 v8, v7, v8
	v_add_co_u32_e32 v10, vcc, v10, v11
	v_addc_co_u32_e32 v10, vcc, v12, v13, vcc
	v_addc_co_u32_e32 v11, vcc, 0, v15, vcc
	v_add_co_u32_e32 v8, vcc, v10, v8
	v_addc_co_u32_e32 v10, vcc, 0, v11, vcc
	v_add_co_u32_e32 v4, vcc, v4, v8
	v_addc_co_u32_e32 v7, vcc, v7, v10, vcc
	v_mul_lo_u32 v8, s0, v7
	v_mul_hi_u32 v10, s0, v4
	v_mul_lo_u32 v11, s1, v4
	v_mul_lo_u32 v12, s0, v4
	v_add_u32_e32 v8, v10, v8
	v_add_u32_e32 v8, v8, v11
	v_mul_lo_u32 v13, v4, v8
	v_mul_hi_u32 v14, v4, v12
	v_mul_hi_u32 v15, v4, v8
	;; [unrolled: 1-line block ×3, first 2 shown]
	v_mul_lo_u32 v12, v7, v12
	v_mul_hi_u32 v10, v7, v8
	v_add_co_u32_e32 v13, vcc, v14, v13
	v_addc_co_u32_e32 v14, vcc, 0, v15, vcc
	v_mul_lo_u32 v8, v7, v8
	v_add_co_u32_e32 v12, vcc, v13, v12
	v_addc_co_u32_e32 v11, vcc, v14, v11, vcc
	v_addc_co_u32_e32 v10, vcc, 0, v10, vcc
	v_add_co_u32_e32 v8, vcc, v11, v8
	v_addc_co_u32_e32 v10, vcc, 0, v10, vcc
	v_add_co_u32_e32 v4, vcc, v4, v8
	v_addc_co_u32_e32 v10, vcc, v7, v10, vcc
	v_mad_u64_u32 v[7:8], s[0:1], v5, v10, 0
	v_mul_hi_u32 v11, v5, v4
	v_add_co_u32_e32 v12, vcc, v11, v7
	v_addc_co_u32_e32 v13, vcc, 0, v8, vcc
	v_mad_u64_u32 v[7:8], s[0:1], v6, v4, 0
	v_mad_u64_u32 v[10:11], s[0:1], v6, v10, 0
	v_add_co_u32_e32 v4, vcc, v12, v7
	v_addc_co_u32_e32 v4, vcc, v13, v8, vcc
	v_addc_co_u32_e32 v7, vcc, 0, v11, vcc
	v_add_co_u32_e32 v4, vcc, v4, v10
	v_addc_co_u32_e32 v10, vcc, 0, v7, vcc
	v_mul_lo_u32 v11, s19, v4
	v_mul_lo_u32 v12, s18, v10
	v_mad_u64_u32 v[7:8], s[0:1], s18, v4, 0
	v_add3_u32 v8, v8, v12, v11
	v_sub_u32_e32 v11, v6, v8
	v_mov_b32_e32 v12, s19
	v_sub_co_u32_e32 v7, vcc, v5, v7
	v_subb_co_u32_e64 v11, s[0:1], v11, v12, vcc
	v_subrev_co_u32_e64 v12, s[0:1], s18, v7
	v_subbrev_co_u32_e64 v11, s[0:1], 0, v11, s[0:1]
	v_cmp_le_u32_e64 s[0:1], s19, v11
	v_cndmask_b32_e64 v13, 0, -1, s[0:1]
	v_cmp_le_u32_e64 s[0:1], s18, v12
	v_cndmask_b32_e64 v12, 0, -1, s[0:1]
	v_cmp_eq_u32_e64 s[0:1], s19, v11
	v_cndmask_b32_e64 v11, v13, v12, s[0:1]
	v_add_co_u32_e64 v12, s[0:1], 2, v4
	v_addc_co_u32_e64 v13, s[0:1], 0, v10, s[0:1]
	v_add_co_u32_e64 v14, s[0:1], 1, v4
	v_addc_co_u32_e64 v15, s[0:1], 0, v10, s[0:1]
	v_subb_co_u32_e32 v8, vcc, v6, v8, vcc
	v_cmp_ne_u32_e64 s[0:1], 0, v11
	v_cmp_le_u32_e32 vcc, s19, v8
	v_cndmask_b32_e64 v11, v15, v13, s[0:1]
	v_cndmask_b32_e64 v13, 0, -1, vcc
	v_cmp_le_u32_e32 vcc, s18, v7
	v_cndmask_b32_e64 v7, 0, -1, vcc
	v_cmp_eq_u32_e32 vcc, s19, v8
	v_cndmask_b32_e32 v7, v13, v7, vcc
	v_cmp_ne_u32_e32 vcc, 0, v7
	v_cndmask_b32_e64 v7, v14, v12, s[0:1]
	v_cndmask_b32_e32 v8, v10, v11, vcc
	v_cndmask_b32_e32 v7, v4, v7, vcc
.LBB0_4:                                ;   in Loop: Header=BB0_2 Depth=1
	s_andn2_saveexec_b64 s[0:1], s[20:21]
	s_cbranch_execz .LBB0_6
; %bb.5:                                ;   in Loop: Header=BB0_2 Depth=1
	v_cvt_f32_u32_e32 v4, s18
	s_sub_i32 s20, 0, s18
	v_rcp_iflag_f32_e32 v4, v4
	v_mul_f32_e32 v4, 0x4f7ffffe, v4
	v_cvt_u32_f32_e32 v4, v4
	v_mul_lo_u32 v7, s20, v4
	v_mul_hi_u32 v7, v4, v7
	v_add_u32_e32 v4, v4, v7
	v_mul_hi_u32 v4, v5, v4
	v_mul_lo_u32 v7, v4, s18
	v_add_u32_e32 v8, 1, v4
	v_sub_u32_e32 v7, v5, v7
	v_subrev_u32_e32 v10, s18, v7
	v_cmp_le_u32_e32 vcc, s18, v7
	v_cndmask_b32_e32 v7, v7, v10, vcc
	v_cndmask_b32_e32 v4, v4, v8, vcc
	v_add_u32_e32 v8, 1, v4
	v_cmp_le_u32_e32 vcc, s18, v7
	v_cndmask_b32_e32 v7, v4, v8, vcc
	v_mov_b32_e32 v8, v3
.LBB0_6:                                ;   in Loop: Header=BB0_2 Depth=1
	s_or_b64 exec, exec, s[0:1]
	v_mul_lo_u32 v4, v8, s18
	v_mul_lo_u32 v12, v7, s19
	v_mad_u64_u32 v[10:11], s[0:1], v7, s18, 0
	s_load_dwordx2 s[0:1], s[6:7], 0x0
	s_add_u32 s16, s16, 1
	v_add3_u32 v4, v11, v12, v4
	v_sub_co_u32_e32 v5, vcc, v5, v10
	v_subb_co_u32_e32 v4, vcc, v6, v4, vcc
	s_waitcnt lgkmcnt(0)
	v_mul_lo_u32 v4, s0, v4
	v_mul_lo_u32 v6, s1, v5
	v_mad_u64_u32 v[1:2], s[0:1], s0, v5, v[1:2]
	s_addc_u32 s17, s17, 0
	s_add_u32 s6, s6, 8
	v_add3_u32 v2, v6, v2, v4
	v_mov_b32_e32 v4, s10
	v_mov_b32_e32 v5, s11
	s_addc_u32 s7, s7, 0
	v_cmp_ge_u64_e32 vcc, s[16:17], v[4:5]
	s_add_u32 s14, s14, 8
	s_addc_u32 s15, s15, 0
	s_cbranch_vccnz .LBB0_9
; %bb.7:                                ;   in Loop: Header=BB0_2 Depth=1
	v_mov_b32_e32 v5, v7
	v_mov_b32_e32 v6, v8
	s_branch .LBB0_2
.LBB0_8:
	v_mov_b32_e32 v8, v6
	v_mov_b32_e32 v7, v5
.LBB0_9:
	s_lshl_b64 s[0:1], s[10:11], 3
	s_add_u32 s0, s2, s0
	s_addc_u32 s1, s3, s1
	s_load_dwordx2 s[2:3], s[0:1], 0x0
	s_load_dwordx2 s[6:7], s[4:5], 0x20
	v_and_b32_e32 v5, 1, v9
	v_mov_b32_e32 v6, 0x11e
	v_cmp_eq_u32_e32 vcc, 1, v5
	s_waitcnt lgkmcnt(0)
	v_mul_lo_u32 v3, s2, v8
	v_mul_lo_u32 v4, s3, v7
	v_mad_u64_u32 v[1:2], s[0:1], s2, v7, v[1:2]
	s_mov_b32 s0, 0x9d89d8a
	v_cndmask_b32_e32 v34, 0, v6, vcc
	v_add3_u32 v2, v4, v2, v3
	v_mul_hi_u32 v3, v0, s0
	v_cmp_gt_u64_e32 vcc, s[6:7], v[7:8]
	v_lshlrev_b64 v[28:29], 3, v[1:2]
	v_lshlrev_b32_e32 v36, 3, v34
	v_mul_u32_u24_e32 v3, 26, v3
	v_sub_u32_e32 v30, v0, v3
	v_lshlrev_b32_e32 v0, 3, v30
	s_and_saveexec_b64 s[2:3], vcc
	s_cbranch_execz .LBB0_11
; %bb.10:
	v_mov_b32_e32 v31, 0
	v_mov_b32_e32 v1, s13
	v_add_co_u32_e64 v3, s[0:1], s12, v28
	v_addc_co_u32_e64 v4, s[0:1], v1, v29, s[0:1]
	v_lshlrev_b64 v[1:2], 3, v[30:31]
	v_add_co_u32_e64 v1, s[0:1], v3, v1
	v_addc_co_u32_e64 v2, s[0:1], v4, v2, s[0:1]
	global_load_dwordx2 v[3:4], v[1:2], off
	global_load_dwordx2 v[5:6], v[1:2], off offset:208
	global_load_dwordx2 v[7:8], v[1:2], off offset:416
	;; [unrolled: 1-line block ×10, first 2 shown]
	v_add3_u32 v1, 0, v36, v0
	s_waitcnt vmcnt(9)
	ds_write2_b64 v1, v[3:4], v[5:6] offset1:26
	s_waitcnt vmcnt(7)
	ds_write2_b64 v1, v[7:8], v[9:10] offset0:52 offset1:78
	s_waitcnt vmcnt(5)
	ds_write2_b64 v1, v[11:12], v[13:14] offset0:104 offset1:130
	;; [unrolled: 2-line block ×4, first 2 shown]
	s_waitcnt vmcnt(0)
	ds_write_b64 v1, v[23:24] offset:2080
.LBB0_11:
	s_or_b64 exec, exec, s[2:3]
	v_add_u32_e32 v35, 0, v0
	v_add_u32_e32 v33, v35, v36
	;; [unrolled: 1-line block ×3, first 2 shown]
	s_waitcnt lgkmcnt(0)
	; wave barrier
	s_waitcnt lgkmcnt(0)
	ds_read2_b64 v[12:15], v33 offset0:22 offset1:44
	ds_read2_b64 v[4:7], v31 offset0:114 offset1:136
	v_add3_u32 v32, 0, v36, v0
	ds_read_b64 v[0:1], v32
	ds_read2_b64 v[20:23], v33 offset0:66 offset1:88
	ds_read2_b64 v[8:11], v33 offset0:198 offset1:220
	s_mov_b32 s4, 0x3f116cb1
	s_waitcnt lgkmcnt(3)
	v_sub_f32_e32 v49, v13, v7
	v_mul_f32_e32 v53, 0xbf52af12, v49
	v_sub_f32_e32 v50, v15, v5
	v_add_f32_e32 v37, v6, v12
	v_mov_b32_e32 v2, v53
	v_mul_f32_e32 v56, 0xbf6f5d39, v50
	v_fmac_f32_e32 v2, 0x3f116cb1, v37
	v_add_f32_e32 v38, v4, v14
	v_mov_b32_e32 v3, v56
	v_sub_f32_e32 v52, v12, v6
	s_waitcnt lgkmcnt(2)
	v_add_f32_e32 v2, v0, v2
	v_fmac_f32_e32 v3, 0xbeb58ec6, v38
	v_add_f32_e32 v40, v7, v13
	v_mul_f32_e32 v60, 0xbf52af12, v52
	v_sub_f32_e32 v55, v14, v4
	v_add_f32_e32 v2, v3, v2
	v_fma_f32 v3, v40, s4, -v60
	s_mov_b32 s5, 0xbeb58ec6
	v_add_f32_e32 v41, v5, v15
	v_mul_f32_e32 v63, 0xbf6f5d39, v55
	s_waitcnt lgkmcnt(0)
	v_sub_f32_e32 v51, v21, v11
	v_add_f32_e32 v3, v1, v3
	v_fma_f32 v16, v41, s5, -v63
	v_mul_f32_e32 v59, 0xbe750f2a, v51
	v_add_f32_e32 v3, v16, v3
	v_add_f32_e32 v39, v10, v20
	v_mov_b32_e32 v16, v59
	v_sub_f32_e32 v57, v20, v10
	v_fmac_f32_e32 v16, 0xbf788fa5, v39
	s_mov_b32 s6, 0xbf788fa5
	v_add_f32_e32 v43, v11, v21
	v_mul_f32_e32 v67, 0xbe750f2a, v57
	v_sub_f32_e32 v54, v23, v9
	v_add_f32_e32 v2, v16, v2
	v_fma_f32 v16, v43, s6, -v67
	v_mul_f32_e32 v64, 0x3f29c268, v54
	v_add_f32_e32 v3, v16, v3
	v_add_f32_e32 v42, v8, v22
	v_mov_b32_e32 v16, v64
	v_fmac_f32_e32 v16, 0xbf3f9e67, v42
	v_add_f32_e32 v2, v16, v2
	ds_read2_b64 v[24:27], v33 offset0:110 offset1:132
	ds_read2_b64 v[16:19], v33 offset0:154 offset1:176
	v_sub_f32_e32 v62, v22, v8
	s_mov_b32 s7, 0xbf3f9e67
	v_add_f32_e32 v45, v9, v23
	v_mul_f32_e32 v69, 0x3f29c268, v62
	s_waitcnt lgkmcnt(0)
	v_sub_f32_e32 v58, v25, v19
	v_fma_f32 v44, v45, s7, -v69
	v_mul_f32_e32 v68, 0x3f7e222b, v58
	v_add_f32_e32 v3, v44, v3
	v_add_f32_e32 v44, v18, v24
	v_mov_b32_e32 v46, v68
	v_sub_f32_e32 v66, v24, v18
	v_fmac_f32_e32 v46, 0x3df6dbef, v44
	s_mov_b32 s10, 0x3df6dbef
	v_add_f32_e32 v47, v19, v25
	v_mul_f32_e32 v71, 0x3f7e222b, v66
	v_sub_f32_e32 v61, v27, v17
	v_add_f32_e32 v2, v46, v2
	v_fma_f32 v46, v47, s10, -v71
	v_mul_f32_e32 v70, 0x3eedf032, v61
	v_sub_f32_e32 v65, v26, v16
	v_add_f32_e32 v3, v46, v3
	s_mov_b32 s11, 0x3f62ad3f
	v_add_f32_e32 v46, v16, v26
	v_mov_b32_e32 v73, v70
	v_add_f32_e32 v48, v17, v27
	v_mul_f32_e32 v72, 0x3eedf032, v65
	v_fmac_f32_e32 v73, 0x3f62ad3f, v46
	v_fma_f32 v74, v48, s11, -v72
	v_add_f32_e32 v2, v73, v2
	v_add_f32_e32 v3, v74, v3
	v_cmp_gt_u32_e64 s[0:1], 22, v30
	s_waitcnt lgkmcnt(0)
	; wave barrier
	s_and_saveexec_b64 s[2:3], s[0:1]
	s_cbranch_execz .LBB0_13
; %bb.12:
	v_add_f32_e32 v13, v1, v13
	v_add_f32_e32 v12, v0, v12
	v_mul_f32_e32 v73, 0x3df6dbef, v40
	v_add_f32_e32 v13, v13, v15
	v_add_f32_e32 v12, v12, v14
	v_mov_b32_e32 v14, v73
	v_mul_f32_e32 v15, 0xbf788fa5, v41
	v_add_f32_e32 v13, v13, v21
	v_add_f32_e32 v12, v12, v20
	v_fmac_f32_e32 v14, 0x3f7e222b, v52
	v_mov_b32_e32 v74, v15
	v_add_f32_e32 v13, v13, v23
	v_add_f32_e32 v12, v12, v22
	v_mul_f32_e32 v22, 0xbf7e222b, v49
	v_add_f32_e32 v14, v1, v14
	v_fmac_f32_e32 v74, 0x3e750f2a, v55
	v_mov_b32_e32 v23, v22
	v_add_f32_e32 v13, v13, v25
	v_add_f32_e32 v12, v12, v24
	v_mul_f32_e32 v24, 0xbe750f2a, v50
	v_add_f32_e32 v14, v74, v14
	v_mul_f32_e32 v74, 0xbeb58ec6, v43
	v_fmac_f32_e32 v23, 0x3df6dbef, v37
	v_add_f32_e32 v25, v13, v27
	v_mov_b32_e32 v13, v24
	v_mov_b32_e32 v75, v74
	v_add_f32_e32 v23, v0, v23
	v_fmac_f32_e32 v13, 0xbf788fa5, v38
	v_fmac_f32_e32 v75, 0xbf6f5d39, v57
	v_add_f32_e32 v13, v13, v23
	v_mul_f32_e32 v23, 0x3f6f5d39, v51
	v_add_f32_e32 v14, v75, v14
	v_mul_f32_e32 v75, 0x3f62ad3f, v45
	v_add_f32_e32 v12, v12, v26
	v_mov_b32_e32 v26, v23
	v_mov_b32_e32 v76, v75
	v_mul_f32_e32 v20, 0x3f116cb1, v47
	v_fmac_f32_e32 v26, 0xbeb58ec6, v39
	v_fmac_f32_e32 v76, 0xbeedf032, v62
	v_mov_b32_e32 v21, v20
	v_add_f32_e32 v13, v26, v13
	v_mul_f32_e32 v26, 0x3eedf032, v54
	v_add_f32_e32 v14, v76, v14
	v_fmac_f32_e32 v21, 0x3f52af12, v66
	v_mov_b32_e32 v27, v26
	v_add_f32_e32 v14, v21, v14
	v_mul_f32_e32 v21, 0xbf3f9e67, v48
	v_fmac_f32_e32 v27, 0x3f62ad3f, v42
	v_add_f32_e32 v27, v27, v13
	v_mov_b32_e32 v13, v21
	v_fmac_f32_e32 v13, 0x3f29c268, v65
	v_add_f32_e32 v12, v12, v16
	v_add_f32_e32 v13, v13, v14
	;; [unrolled: 1-line block ×10, first 2 shown]
	v_mul_f32_e32 v79, 0xbe750f2a, v49
	v_add_f32_e32 v5, v9, v5
	v_add_f32_e32 v4, v4, v6
	v_fma_f32 v6, v37, s6, -v79
	v_mul_f32_e32 v80, 0x3eedf032, v50
	v_add_f32_e32 v5, v5, v7
	v_add_f32_e32 v6, v0, v6
	v_fma_f32 v7, v38, s11, -v80
	v_mul_f32_e32 v81, 0xbf29c268, v51
	v_mul_f32_e32 v17, 0xbf52af12, v58
	v_add_f32_e32 v6, v7, v6
	v_fma_f32 v7, v39, s7, -v81
	v_mul_f32_e32 v82, 0x3f52af12, v54
	v_mov_b32_e32 v12, v17
	v_mul_f32_e32 v18, 0xbf29c268, v61
	v_add_f32_e32 v6, v7, v6
	v_fma_f32 v7, v42, s4, -v82
	v_mul_f32_e32 v83, 0xbf6f5d39, v58
	v_fmac_f32_e32 v12, 0x3f116cb1, v44
	v_mov_b32_e32 v19, v18
	v_add_f32_e32 v6, v7, v6
	v_fma_f32 v7, v44, s5, -v83
	v_mul_f32_e32 v85, 0x3f7e222b, v61
	v_add_f32_e32 v12, v12, v27
	v_fmac_f32_e32 v19, 0xbf3f9e67, v46
	v_mul_f32_e32 v25, 0xbe750f2a, v52
	v_add_f32_e32 v6, v7, v6
	v_fma_f32 v8, v46, s10, -v85
	v_mul_f32_e32 v86, 0xbf29c268, v52
	v_add_f32_e32 v12, v19, v12
	v_mov_b32_e32 v19, v25
	v_mul_f32_e32 v27, 0x3eedf032, v55
	v_add_f32_e32 v6, v8, v6
	v_mov_b32_e32 v8, v86
	v_mul_f32_e32 v87, 0x3f7e222b, v55
	v_fmac_f32_e32 v19, 0xbf788fa5, v40
	v_mov_b32_e32 v76, v27
	v_fmac_f32_e32 v8, 0xbf3f9e67, v40
	v_mov_b32_e32 v9, v87
	v_add_f32_e32 v19, v1, v19
	v_fmac_f32_e32 v76, 0x3f62ad3f, v41
	v_add_f32_e32 v8, v1, v8
	v_fmac_f32_e32 v9, 0x3df6dbef, v41
	v_mul_f32_e32 v88, 0xbf52af12, v57
	v_add_f32_e32 v19, v76, v19
	v_mul_f32_e32 v76, 0xbf29c268, v57
	v_add_f32_e32 v8, v9, v8
	v_mov_b32_e32 v9, v88
	v_mov_b32_e32 v10, v76
	v_mul_f32_e32 v77, 0x3f52af12, v62
	v_fmac_f32_e32 v9, 0x3f116cb1, v43
	v_mul_f32_e32 v89, 0x3e750f2a, v62
	v_fmac_f32_e32 v10, 0xbf3f9e67, v43
	v_mov_b32_e32 v11, v77
	v_add_f32_e32 v8, v9, v8
	v_mov_b32_e32 v9, v89
	v_add_f32_e32 v10, v10, v19
	v_fmac_f32_e32 v11, 0x3f116cb1, v45
	v_mul_f32_e32 v78, 0xbf6f5d39, v66
	v_fmac_f32_e32 v9, 0xbf788fa5, v45
	v_mul_f32_e32 v90, 0x3eedf032, v66
	v_add_f32_e32 v10, v11, v10
	v_mov_b32_e32 v11, v78
	v_mul_f32_e32 v84, 0x3f7e222b, v65
	v_add_f32_e32 v8, v9, v8
	v_mov_b32_e32 v9, v90
	v_fmac_f32_e32 v11, 0xbeb58ec6, v47
	v_mov_b32_e32 v7, v84
	v_fmac_f32_e32 v9, 0x3f62ad3f, v47
	v_mul_f32_e32 v91, 0xbf29c268, v49
	v_add_f32_e32 v10, v11, v10
	v_fmac_f32_e32 v7, 0x3df6dbef, v48
	v_add_f32_e32 v8, v9, v8
	v_fma_f32 v9, v37, s7, -v91
	v_mul_f32_e32 v92, 0x3f7e222b, v50
	v_add_f32_e32 v7, v7, v10
	v_add_f32_e32 v9, v0, v9
	v_fma_f32 v10, v38, s10, -v92
	v_mul_f32_e32 v93, 0xbf52af12, v51
	v_add_f32_e32 v9, v10, v9
	v_fma_f32 v10, v39, s4, -v93
	v_mul_f32_e32 v94, 0x3e750f2a, v54
	;; [unrolled: 3-line block ×4, first 2 shown]
	v_add_f32_e32 v10, v10, v9
	v_mov_b32_e32 v9, v96
	v_fmac_f32_e32 v9, 0xbeb58ec6, v48
	v_mul_f32_e32 v97, 0xbf6f5d39, v61
	v_add_f32_e32 v9, v9, v8
	v_fma_f32 v8, v46, s5, -v97
	v_mul_f32_e32 v98, 0xbf6f5d39, v52
	v_add_f32_e32 v8, v8, v10
	v_mov_b32_e32 v10, v98
	v_mul_f32_e32 v99, 0x3f29c268, v55
	v_fmac_f32_e32 v10, 0xbeb58ec6, v40
	v_mov_b32_e32 v11, v99
	v_add_f32_e32 v10, v1, v10
	v_fmac_f32_e32 v11, 0xbf3f9e67, v41
	v_mul_f32_e32 v100, 0x3eedf032, v57
	v_add_f32_e32 v10, v11, v10
	v_mov_b32_e32 v11, v100
	v_fmac_f32_e32 v11, 0x3f62ad3f, v43
	v_mul_f32_e32 v101, 0xbf7e222b, v62
	v_add_f32_e32 v10, v11, v10
	v_mov_b32_e32 v11, v101
	;; [unrolled: 4-line block ×3, first 2 shown]
	v_fmac_f32_e32 v11, 0xbf788fa5, v47
	v_mul_f32_e32 v103, 0xbf6f5d39, v49
	v_add_f32_e32 v10, v11, v10
	v_fma_f32 v11, v37, s5, -v103
	v_mul_f32_e32 v104, 0x3f29c268, v50
	v_add_f32_e32 v11, v0, v11
	v_fma_f32 v14, v38, s7, -v104
	;; [unrolled: 3-line block ×5, first 2 shown]
	v_mul_f32_e32 v108, 0x3f52af12, v65
	v_add_f32_e32 v14, v14, v11
	v_mov_b32_e32 v11, v108
	v_fmac_f32_e32 v11, 0x3f116cb1, v48
	v_mul_f32_e32 v109, 0x3f52af12, v61
	v_add_f32_e32 v11, v11, v10
	v_fma_f32 v10, v46, s4, -v109
	v_fmac_f32_e32 v73, 0xbf7e222b, v52
	v_add_f32_e32 v10, v10, v14
	v_add_f32_e32 v14, v1, v73
	v_fmac_f32_e32 v15, 0xbe750f2a, v55
	v_add_f32_e32 v14, v15, v14
	v_fma_f32 v15, v37, s10, -v22
	v_fmac_f32_e32 v74, 0x3f6f5d39, v57
	v_add_f32_e32 v15, v0, v15
	v_fma_f32 v16, v38, s6, -v24
	v_add_f32_e32 v14, v74, v14
	v_fmac_f32_e32 v75, 0x3eedf032, v62
	v_add_f32_e32 v15, v16, v15
	v_fma_f32 v16, v39, s5, -v23
	v_add_f32_e32 v14, v75, v14
	;; [unrolled: 4-line block ×3, first 2 shown]
	v_add_f32_e32 v15, v16, v15
	v_fma_f32 v16, v44, s4, -v17
	v_fmac_f32_e32 v21, 0xbf29c268, v65
	v_add_f32_e32 v16, v16, v15
	v_add_f32_e32 v15, v21, v14
	v_fma_f32 v14, v46, s7, -v18
	v_add_f32_e32 v14, v14, v16
	v_mul_f32_e32 v16, 0x3f116cb1, v40
	v_mul_f32_e32 v18, 0x3f116cb1, v37
	v_add_f32_e32 v16, v60, v16
	v_mul_f32_e32 v17, 0xbeb58ec6, v41
	v_sub_f32_e32 v18, v18, v53
	v_mul_f32_e32 v19, 0xbeb58ec6, v38
	v_add_f32_e32 v17, v63, v17
	v_add_f32_e32 v16, v1, v16
	v_sub_f32_e32 v19, v19, v56
	v_add_f32_e32 v18, v0, v18
	v_add_f32_e32 v16, v17, v16
	v_mul_f32_e32 v17, 0xbf788fa5, v43
	v_add_f32_e32 v18, v19, v18
	v_mul_f32_e32 v19, 0xbf788fa5, v39
	v_add_f32_e32 v17, v67, v17
	v_sub_f32_e32 v19, v19, v59
	v_add_f32_e32 v16, v17, v16
	v_mul_f32_e32 v17, 0xbf3f9e67, v45
	v_add_f32_e32 v18, v19, v18
	v_mul_f32_e32 v19, 0xbf3f9e67, v42
	v_add_f32_e32 v17, v69, v17
	v_sub_f32_e32 v19, v19, v64
	;; [unrolled: 6-line block ×4, first 2 shown]
	v_mul_f32_e32 v26, 0xbeedf032, v52
	v_add_f32_e32 v17, v17, v16
	v_add_f32_e32 v16, v19, v18
	v_mov_b32_e32 v18, v26
	v_mul_f32_e32 v52, 0xbf52af12, v55
	v_fmac_f32_e32 v18, 0x3f62ad3f, v40
	v_mov_b32_e32 v19, v52
	v_add_f32_e32 v18, v1, v18
	v_fmac_f32_e32 v19, 0x3f116cb1, v41
	v_mul_f32_e32 v53, 0xbf7e222b, v57
	v_add_f32_e32 v18, v19, v18
	v_mov_b32_e32 v19, v53
	v_fmac_f32_e32 v19, 0x3df6dbef, v43
	v_mul_f32_e32 v55, 0xbf6f5d39, v62
	v_add_f32_e32 v18, v19, v18
	v_mov_b32_e32 v19, v55
	;; [unrolled: 4-line block ×3, first 2 shown]
	v_fmac_f32_e32 v19, 0xbf3f9e67, v47
	v_mul_f32_e32 v49, 0xbeedf032, v49
	v_add_f32_e32 v18, v19, v18
	v_fma_f32 v19, v37, s11, -v49
	v_mul_f32_e32 v50, 0xbf52af12, v50
	v_add_f32_e32 v19, v0, v19
	v_fma_f32 v20, v38, s4, -v50
	;; [unrolled: 3-line block ×5, first 2 shown]
	v_mul_f32_e32 v58, 0xbe750f2a, v65
	v_add_f32_e32 v20, v20, v19
	v_mov_b32_e32 v19, v58
	v_fmac_f32_e32 v19, 0xbf788fa5, v48
	v_mul_f32_e32 v59, 0xbe750f2a, v61
	v_add_f32_e32 v19, v19, v18
	v_fma_f32 v18, v46, s6, -v59
	v_add_f32_e32 v18, v18, v20
	v_fma_f32 v20, v40, s6, -v25
	v_add_f32_e32 v20, v1, v20
	v_fma_f32 v21, v41, s11, -v27
	v_add_f32_e32 v20, v21, v20
	v_fma_f32 v21, v43, s7, -v76
	v_add_f32_e32 v20, v21, v20
	v_fma_f32 v21, v45, s4, -v77
	v_add_f32_e32 v20, v21, v20
	v_fma_f32 v21, v47, s5, -v78
	v_fmac_f32_e32 v79, 0xbf788fa5, v37
	v_add_f32_e32 v20, v21, v20
	v_add_f32_e32 v21, v0, v79
	v_fmac_f32_e32 v80, 0x3f62ad3f, v38
	v_add_f32_e32 v21, v80, v21
	v_fmac_f32_e32 v81, 0xbf3f9e67, v39
	;; [unrolled: 2-line block ×4, first 2 shown]
	v_add_f32_e32 v22, v83, v21
	v_fma_f32 v21, v48, s10, -v84
	v_fmac_f32_e32 v85, 0x3df6dbef, v46
	v_add_f32_e32 v21, v21, v20
	v_add_f32_e32 v20, v85, v22
	v_fma_f32 v22, v40, s7, -v86
	v_fma_f32 v24, v40, s5, -v98
	v_add_f32_e32 v22, v1, v22
	v_fma_f32 v23, v41, s10, -v87
	v_add_f32_e32 v24, v1, v24
	;; [unrolled: 2-line block ×6, first 2 shown]
	v_fma_f32 v25, v45, s10, -v101
	v_fma_f32 v26, v40, s11, -v26
	v_add_f32_e32 v22, v23, v22
	v_fma_f32 v23, v47, s11, -v90
	v_add_f32_e32 v24, v25, v24
	;; [unrolled: 2-line block ×4, first 2 shown]
	v_fma_f32 v23, v48, s5, -v96
	v_fmac_f32_e32 v91, 0xbf3f9e67, v37
	v_add_f32_e32 v24, v25, v24
	v_fma_f32 v25, v48, s4, -v108
	v_fmac_f32_e32 v103, 0xbeb58ec6, v37
	v_add_f32_e32 v1, v26, v1
	;; [unrolled: 3-line block ×3, first 2 shown]
	v_add_f32_e32 v22, v0, v91
	v_fmac_f32_e32 v92, 0x3df6dbef, v38
	v_add_f32_e32 v25, v25, v24
	v_add_f32_e32 v24, v0, v103
	v_fmac_f32_e32 v104, 0xbf3f9e67, v38
	v_add_f32_e32 v1, v26, v1
	v_fma_f32 v26, v45, s5, -v55
	v_add_f32_e32 v0, v0, v49
	v_fmac_f32_e32 v50, 0x3f116cb1, v38
	v_add_f32_e32 v22, v92, v22
	v_fmac_f32_e32 v93, 0x3f116cb1, v39
	v_add_f32_e32 v24, v104, v24
	v_fmac_f32_e32 v105, 0x3f62ad3f, v39
	v_add_f32_e32 v1, v26, v1
	v_fma_f32 v26, v47, s7, -v56
	v_add_f32_e32 v0, v50, v0
	v_fmac_f32_e32 v51, 0x3df6dbef, v39
	v_add_f32_e32 v22, v93, v22
	v_fmac_f32_e32 v94, 0xbf788fa5, v42
	;; [unrolled: 8-line block ×3, first 2 shown]
	v_add_f32_e32 v24, v106, v24
	v_fmac_f32_e32 v107, 0xbf788fa5, v44
	v_add_f32_e32 v1, v26, v1
	v_add_f32_e32 v0, v54, v0
	v_fmac_f32_e32 v57, 0xbf3f9e67, v44
	v_mul_u32_u24_e32 v26, 0x60, v30
	v_add_f32_e32 v22, v95, v22
	v_fmac_f32_e32 v97, 0xbeb58ec6, v46
	v_add_f32_e32 v24, v107, v24
	v_fmac_f32_e32 v109, 0x3f116cb1, v46
	;; [unrolled: 2-line block ×3, first 2 shown]
	v_add3_u32 v26, v35, v26, v36
	v_add_f32_e32 v22, v97, v22
	v_add_f32_e32 v24, v109, v24
	v_add_f32_e32 v0, v59, v0
	ds_write2_b64 v26, v[4:5], v[18:19] offset1:1
	ds_write2_b64 v26, v[16:17], v[14:15] offset0:2 offset1:3
	ds_write2_b64 v26, v[10:11], v[8:9] offset0:4 offset1:5
	;; [unrolled: 1-line block ×5, first 2 shown]
	ds_write_b64 v26, v[0:1] offset:96
.LBB0_13:
	s_or_b64 exec, exec, s[2:3]
	v_add_u32_e32 v20, -13, v30
	v_cmp_gt_u32_e64 s[0:1], 13, v30
	v_cndmask_b32_e64 v27, v20, v30, s[0:1]
	v_mul_i32_i24_e32 v21, 10, v27
	v_mov_b32_e32 v22, 0
	v_lshlrev_b64 v[0:1], 3, v[21:22]
	v_mov_b32_e32 v4, s9
	v_add_co_u32_e64 v0, s[2:3], s8, v0
	v_addc_co_u32_e64 v1, s[2:3], v4, v1, s[2:3]
	s_waitcnt lgkmcnt(0)
	; wave barrier
	s_waitcnt lgkmcnt(0)
	global_load_dwordx4 v[4:7], v[0:1], off
	global_load_dwordx4 v[8:11], v[0:1], off offset:16
	global_load_dwordx4 v[12:15], v[0:1], off offset:32
	;; [unrolled: 1-line block ×4, first 2 shown]
	ds_read2_b64 v[37:40], v33 offset0:26 offset1:52
	ds_read2_b64 v[41:44], v33 offset0:78 offset1:104
	ds_read2_b32 v[0:1], v31 offset0:4 offset1:5
	ds_read2_b64 v[45:48], v33 offset0:156 offset1:182
	ds_read2_b64 v[49:52], v33 offset0:208 offset1:234
	ds_read_b64 v[53:54], v32
	ds_read_b64 v[55:56], v33 offset:2080
	s_mov_b32 s2, 0x3f575c64
	s_mov_b32 s6, 0xbf75a155
	s_mov_b32 s3, 0x3ed4b147
	s_mov_b32 s4, 0xbe11bafb
	s_mov_b32 s5, 0xbf27a4f4
	v_lshlrev_b32_e32 v27, 3, v27
	s_waitcnt lgkmcnt(0)
	; wave barrier
	s_waitcnt vmcnt(4) lgkmcnt(0)
	v_mul_f32_e32 v21, v5, v38
	v_mul_f32_e32 v5, v5, v37
	;; [unrolled: 1-line block ×4, first 2 shown]
	s_waitcnt vmcnt(3)
	v_mul_f32_e32 v57, v9, v42
	v_mul_f32_e32 v9, v9, v41
	;; [unrolled: 1-line block ×4, first 2 shown]
	s_waitcnt vmcnt(2)
	v_mul_f32_e32 v59, v1, v13
	v_mul_f32_e32 v13, v13, v0
	s_waitcnt vmcnt(1)
	v_mul_f32_e32 v61, v48, v17
	v_mul_f32_e32 v17, v47, v17
	;; [unrolled: 1-line block ×4, first 2 shown]
	s_waitcnt vmcnt(0)
	v_mul_f32_e32 v64, v56, v26
	v_mul_f32_e32 v26, v55, v26
	v_fma_f32 v21, v4, v37, -v21
	v_fmac_f32_e32 v5, v4, v38
	v_fma_f32 v31, v6, v39, -v31
	v_fmac_f32_e32 v7, v6, v40
	;; [unrolled: 2-line block ×7, first 2 shown]
	v_fmac_f32_e32 v26, v56, v25
	v_add_f32_e32 v16, v21, v53
	v_add_f32_e32 v18, v5, v54
	v_fma_f32 v4, v55, v25, -v64
	v_add_f32_e32 v25, v5, v26
	v_sub_f32_e32 v37, v5, v26
	v_add_f32_e32 v5, v16, v31
	v_add_f32_e32 v16, v18, v7
	;; [unrolled: 1-line block ×4, first 2 shown]
	v_mul_f32_e32 v60, v46, v15
	v_mul_f32_e32 v15, v45, v15
	v_add_f32_e32 v5, v5, v8
	v_add_f32_e32 v16, v16, v11
	v_fma_f32 v1, v45, v14, -v60
	v_fmac_f32_e32 v15, v46, v14
	v_add_f32_e32 v5, v5, v0
	v_add_f32_e32 v16, v16, v13
	;; [unrolled: 1-line block ×4, first 2 shown]
	v_mul_f32_e32 v63, v52, v24
	v_mul_f32_e32 v24, v51, v24
	v_add_f32_e32 v5, v5, v10
	v_add_f32_e32 v16, v16, v17
	v_fma_f32 v14, v51, v23, -v63
	v_fmac_f32_e32 v24, v52, v23
	v_add_f32_e32 v5, v5, v12
	v_add_f32_e32 v16, v16, v19
	;; [unrolled: 1-line block ×5, first 2 shown]
	v_sub_f32_e32 v21, v21, v4
	v_mul_f32_e32 v18, 0xbf0a6770, v37
	v_add_f32_e32 v4, v5, v4
	v_add_f32_e32 v5, v16, v26
	v_mul_f32_e32 v26, 0xbf68dda4, v37
	v_mul_f32_e32 v43, 0xbf7d64f0, v37
	;; [unrolled: 1-line block ×5, first 2 shown]
	v_fma_f32 v39, v23, s2, -v18
	v_fmac_f32_e32 v18, 0x3f575c64, v23
	v_mul_f32_e32 v41, 0xbf68dda4, v21
	v_mul_f32_e32 v45, 0xbf7d64f0, v21
	;; [unrolled: 1-line block ×3, first 2 shown]
	v_fma_f32 v51, v23, s6, -v37
	v_mul_f32_e32 v21, 0xbe903f40, v21
	v_fmac_f32_e32 v37, 0xbf75a155, v23
	v_mov_b32_e32 v40, v38
	v_add_f32_e32 v16, v18, v53
	v_fma_f32 v18, v25, s2, -v38
	v_fma_f32 v38, v23, s3, -v26
	v_mov_b32_e32 v42, v41
	v_fmac_f32_e32 v26, 0x3ed4b147, v23
	v_fma_f32 v44, v23, s4, -v43
	v_mov_b32_e32 v46, v45
	v_fmac_f32_e32 v43, 0xbe11bafb, v23
	v_fma_f32 v48, v23, s5, -v47
	v_mov_b32_e32 v50, v49
	v_fmac_f32_e32 v47, 0xbf27a4f4, v23
	v_mov_b32_e32 v52, v21
	v_add_f32_e32 v23, v37, v53
	v_add_f32_e32 v37, v7, v24
	v_sub_f32_e32 v7, v7, v24
	v_fmac_f32_e32 v40, 0x3f575c64, v25
	v_fmac_f32_e32 v42, 0x3ed4b147, v25
	v_fma_f32 v41, v25, s3, -v41
	v_fmac_f32_e32 v46, 0xbe11bafb, v25
	v_fma_f32 v45, v25, s4, -v45
	;; [unrolled: 2-line block ×4, first 2 shown]
	v_add_f32_e32 v25, v31, v14
	v_mul_f32_e32 v24, 0xbf68dda4, v7
	v_add_f32_e32 v39, v39, v53
	v_sub_f32_e32 v14, v31, v14
	v_fma_f32 v31, v25, s3, -v24
	v_add_f32_e32 v31, v31, v39
	v_mul_f32_e32 v39, 0xbf68dda4, v14
	v_fmac_f32_e32 v24, 0x3ed4b147, v25
	v_add_f32_e32 v18, v18, v54
	v_add_f32_e32 v16, v24, v16
	v_fma_f32 v24, v37, s3, -v39
	v_add_f32_e32 v18, v24, v18
	v_mul_f32_e32 v24, 0xbf4178ce, v7
	v_add_f32_e32 v38, v38, v53
	v_add_f32_e32 v26, v26, v53
	;; [unrolled: 1-line block ×7, first 2 shown]
	v_mov_b32_e32 v53, v39
	v_fma_f32 v39, v25, s5, -v24
	v_add_f32_e32 v40, v40, v54
	v_fmac_f32_e32 v53, 0x3ed4b147, v37
	v_add_f32_e32 v38, v39, v38
	v_mul_f32_e32 v39, 0xbf4178ce, v14
	v_fmac_f32_e32 v24, 0xbf27a4f4, v25
	v_add_f32_e32 v41, v41, v54
	v_add_f32_e32 v40, v53, v40
	v_mov_b32_e32 v53, v39
	v_add_f32_e32 v24, v24, v26
	v_fma_f32 v26, v37, s5, -v39
	v_mul_f32_e32 v39, 0x3e903f40, v7
	v_add_f32_e32 v26, v26, v41
	v_fma_f32 v41, v25, s6, -v39
	v_add_f32_e32 v42, v42, v54
	v_fmac_f32_e32 v53, 0xbf27a4f4, v37
	v_add_f32_e32 v41, v41, v44
	v_mul_f32_e32 v44, 0x3e903f40, v14
	v_fmac_f32_e32 v39, 0xbf75a155, v25
	v_add_f32_e32 v45, v45, v54
	v_add_f32_e32 v42, v53, v42
	v_mov_b32_e32 v53, v44
	v_add_f32_e32 v39, v39, v43
	v_fma_f32 v43, v37, s6, -v44
	v_mul_f32_e32 v44, 0x3f7d64f0, v7
	v_add_f32_e32 v43, v43, v45
	v_fma_f32 v45, v25, s4, -v44
	v_add_f32_e32 v46, v46, v54
	v_fmac_f32_e32 v53, 0xbf75a155, v37
	v_add_f32_e32 v45, v45, v48
	v_mul_f32_e32 v48, 0x3f7d64f0, v14
	v_fmac_f32_e32 v44, 0xbe11bafb, v25
	v_mul_f32_e32 v7, 0x3f0a6770, v7
	v_add_f32_e32 v49, v49, v54
	v_add_f32_e32 v46, v53, v46
	v_mov_b32_e32 v53, v48
	v_add_f32_e32 v44, v44, v47
	v_fma_f32 v47, v37, s4, -v48
	v_fma_f32 v48, v25, s2, -v7
	v_mul_f32_e32 v14, 0x3f0a6770, v14
	v_fmac_f32_e32 v7, 0x3f575c64, v25
	v_add_f32_e32 v21, v21, v54
	v_add_f32_e32 v47, v47, v49
	v_mov_b32_e32 v49, v14
	v_add_f32_e32 v7, v7, v23
	v_fma_f32 v14, v37, s2, -v14
	v_add_f32_e32 v23, v9, v19
	v_sub_f32_e32 v9, v9, v19
	v_add_f32_e32 v14, v14, v21
	v_add_f32_e32 v21, v6, v12
	v_sub_f32_e32 v6, v6, v12
	v_mul_f32_e32 v12, 0xbf7d64f0, v9
	v_fma_f32 v19, v21, s4, -v12
	v_mul_f32_e32 v25, 0xbf7d64f0, v6
	v_fmac_f32_e32 v12, 0xbe11bafb, v21
	v_add_f32_e32 v12, v12, v16
	v_fma_f32 v16, v23, s4, -v25
	v_add_f32_e32 v16, v16, v18
	v_mul_f32_e32 v18, 0x3e903f40, v9
	v_fmac_f32_e32 v53, 0xbe11bafb, v37
	v_fmac_f32_e32 v49, 0x3f575c64, v37
	v_add_f32_e32 v19, v19, v31
	v_mov_b32_e32 v31, v25
	v_fma_f32 v25, v21, s6, -v18
	v_mul_f32_e32 v37, 0x3e903f40, v6
	v_fmac_f32_e32 v18, 0xbf75a155, v21
	v_add_f32_e32 v18, v18, v24
	v_fma_f32 v24, v23, s6, -v37
	v_fmac_f32_e32 v31, 0xbe11bafb, v23
	v_add_f32_e32 v24, v24, v26
	v_mul_f32_e32 v26, 0x3f68dda4, v9
	v_add_f32_e32 v31, v31, v40
	v_add_f32_e32 v25, v25, v38
	v_mov_b32_e32 v38, v37
	v_fma_f32 v37, v21, s3, -v26
	v_mul_f32_e32 v40, 0x3f68dda4, v6
	v_fmac_f32_e32 v26, 0x3ed4b147, v21
	v_fmac_f32_e32 v38, 0xbf75a155, v23
	v_add_f32_e32 v37, v37, v41
	v_mov_b32_e32 v41, v40
	v_add_f32_e32 v26, v26, v39
	v_fma_f32 v39, v23, s3, -v40
	v_mul_f32_e32 v40, 0xbf0a6770, v9
	v_add_f32_e32 v38, v38, v42
	v_fma_f32 v42, v21, s2, -v40
	v_fmac_f32_e32 v40, 0x3f575c64, v21
	v_mul_f32_e32 v9, 0xbf4178ce, v9
	v_fmac_f32_e32 v41, 0x3ed4b147, v23
	v_add_f32_e32 v39, v39, v43
	v_mul_f32_e32 v43, 0xbf0a6770, v6
	v_add_f32_e32 v40, v40, v44
	v_fma_f32 v44, v21, s5, -v9
	v_mul_f32_e32 v6, 0xbf4178ce, v6
	v_fmac_f32_e32 v9, 0xbf27a4f4, v21
	v_add_f32_e32 v41, v41, v46
	v_mov_b32_e32 v46, v6
	v_add_f32_e32 v7, v9, v7
	v_fma_f32 v6, v23, s5, -v6
	v_add_f32_e32 v9, v8, v10
	v_sub_f32_e32 v8, v8, v10
	v_sub_f32_e32 v10, v11, v17
	v_add_f32_e32 v6, v6, v14
	v_add_f32_e32 v14, v11, v17
	v_mul_f32_e32 v11, 0xbf4178ce, v10
	v_fma_f32 v17, v9, s5, -v11
	v_add_f32_e32 v17, v17, v19
	v_mul_f32_e32 v19, 0xbf4178ce, v8
	v_fmac_f32_e32 v11, 0xbf27a4f4, v9
	v_add_f32_e32 v11, v11, v12
	v_fma_f32 v12, v14, s5, -v19
	v_add_f32_e32 v42, v42, v45
	v_mov_b32_e32 v45, v43
	v_add_f32_e32 v12, v12, v16
	v_mul_f32_e32 v16, 0x3f7d64f0, v10
	v_fmac_f32_e32 v45, 0x3f575c64, v23
	v_fma_f32 v43, v23, s2, -v43
	v_fmac_f32_e32 v46, 0xbf27a4f4, v23
	v_mov_b32_e32 v21, v19
	v_fma_f32 v19, v9, s4, -v16
	v_mul_f32_e32 v23, 0x3f7d64f0, v8
	v_fmac_f32_e32 v16, 0xbe11bafb, v9
	v_fmac_f32_e32 v21, 0xbf27a4f4, v14
	v_add_f32_e32 v19, v19, v25
	v_mov_b32_e32 v25, v23
	v_add_f32_e32 v16, v16, v18
	v_fma_f32 v18, v14, s4, -v23
	v_mul_f32_e32 v23, 0xbf0a6770, v10
	v_add_f32_e32 v21, v21, v31
	v_add_f32_e32 v18, v18, v24
	v_fma_f32 v24, v9, s2, -v23
	v_mul_f32_e32 v31, 0xbf0a6770, v8
	v_fmac_f32_e32 v23, 0x3f575c64, v9
	v_add_f32_e32 v24, v24, v37
	v_mov_b32_e32 v37, v31
	v_add_f32_e32 v23, v23, v26
	v_fma_f32 v26, v14, s2, -v31
	v_add_f32_e32 v50, v50, v54
	v_fmac_f32_e32 v37, 0x3f575c64, v14
	v_add_f32_e32 v26, v26, v39
	v_mul_f32_e32 v39, 0xbe903f40, v8
	v_add_f32_e32 v50, v53, v50
	v_add_f32_e32 v48, v48, v51
	v_fmac_f32_e32 v25, 0xbe11bafb, v14
	v_add_f32_e32 v37, v37, v41
	v_mul_f32_e32 v31, 0xbe903f40, v10
	v_mov_b32_e32 v41, v39
	v_add_f32_e32 v45, v45, v50
	v_add_f32_e32 v44, v44, v48
	v_add_f32_e32 v25, v25, v38
	v_fma_f32 v38, v9, s6, -v31
	v_fmac_f32_e32 v41, 0xbf75a155, v14
	v_fmac_f32_e32 v31, 0xbf75a155, v9
	v_mul_f32_e32 v10, 0x3f68dda4, v10
	v_sub_f32_e32 v48, v13, v15
	v_add_f32_e32 v52, v52, v54
	v_add_f32_e32 v43, v43, v47
	;; [unrolled: 1-line block ×4, first 2 shown]
	v_fma_f32 v39, v14, s6, -v39
	v_fma_f32 v40, v9, s3, -v10
	v_mul_f32_e32 v8, 0x3f68dda4, v8
	v_fmac_f32_e32 v10, 0x3ed4b147, v9
	v_add_f32_e32 v45, v0, v1
	v_sub_f32_e32 v47, v0, v1
	v_mul_f32_e32 v0, 0xbe903f40, v48
	v_add_f32_e32 v49, v49, v52
	v_add_f32_e32 v38, v38, v42
	;; [unrolled: 1-line block ×3, first 2 shown]
	v_mov_b32_e32 v42, v8
	v_add_f32_e32 v43, v10, v7
	v_fma_f32 v7, v14, s3, -v8
	v_fma_f32 v1, v45, s6, -v0
	v_add_f32_e32 v46, v46, v49
	v_add_f32_e32 v40, v40, v44
	v_fmac_f32_e32 v42, 0x3ed4b147, v14
	v_add_f32_e32 v44, v7, v6
	v_add_f32_e32 v6, v1, v17
	v_mul_f32_e32 v1, 0xbe903f40, v47
	v_add_f32_e32 v42, v42, v46
	v_add_f32_e32 v46, v13, v15
	v_mov_b32_e32 v7, v1
	v_fmac_f32_e32 v0, 0xbf75a155, v45
	v_fmac_f32_e32 v7, 0xbf75a155, v46
	v_add_f32_e32 v0, v0, v11
	v_fma_f32 v1, v46, s6, -v1
	v_mul_f32_e32 v11, 0x3f0a6770, v47
	v_mul_f32_e32 v14, 0xbf4178ce, v48
	;; [unrolled: 1-line block ×3, first 2 shown]
	v_add_f32_e32 v7, v7, v21
	v_add_f32_e32 v1, v1, v12
	v_mul_f32_e32 v10, 0x3f0a6770, v48
	v_mov_b32_e32 v9, v11
	v_fma_f32 v12, v45, s5, -v14
	v_mov_b32_e32 v13, v15
	v_fmac_f32_e32 v14, 0xbf27a4f4, v45
	v_fma_f32 v15, v46, s5, -v15
	v_mul_f32_e32 v21, 0xbf7d64f0, v48
	v_fma_f32 v8, v45, s2, -v10
	v_fmac_f32_e32 v9, 0x3f575c64, v46
	v_fma_f32 v11, v46, s2, -v11
	v_add_f32_e32 v14, v14, v23
	v_add_f32_e32 v15, v15, v26
	v_fma_f32 v23, v45, s4, -v21
	v_mul_f32_e32 v26, 0xbf7d64f0, v47
	v_fmac_f32_e32 v21, 0xbe11bafb, v45
	v_add_f32_e32 v8, v8, v19
	v_add_f32_e32 v9, v9, v25
	v_fmac_f32_e32 v10, 0x3f575c64, v45
	v_add_f32_e32 v11, v11, v18
	v_mul_f32_e32 v18, 0x3f68dda4, v48
	v_mul_f32_e32 v19, 0x3f68dda4, v47
	v_add_f32_e32 v25, v21, v43
	v_fma_f32 v21, v46, s4, -v26
	v_add_f32_e32 v10, v10, v16
	v_add_f32_e32 v12, v12, v24
	v_fma_f32 v16, v45, s3, -v18
	v_mov_b32_e32 v17, v19
	v_fma_f32 v19, v46, s3, -v19
	v_mov_b32_e32 v24, v26
	v_add_f32_e32 v26, v21, v44
	v_mov_b32_e32 v21, 0x478
	v_cmp_lt_u32_e64 s[2:3], 12, v30
	v_cndmask_b32_e64 v21, 0, v21, s[2:3]
	v_fmac_f32_e32 v13, 0xbf27a4f4, v46
	v_fmac_f32_e32 v17, 0x3ed4b147, v46
	;; [unrolled: 1-line block ×4, first 2 shown]
	v_add_u32_e32 v21, 0, v21
	v_add_f32_e32 v13, v13, v37
	v_add_f32_e32 v16, v16, v38
	;; [unrolled: 1-line block ×6, first 2 shown]
	v_add3_u32 v21, v21, v27, v36
	v_add_f32_e32 v23, v23, v40
	ds_write2_b64 v21, v[4:5], v[6:7] offset1:13
	ds_write2_b64 v21, v[8:9], v[12:13] offset0:26 offset1:39
	ds_write2_b64 v21, v[16:17], v[23:24] offset0:52 offset1:65
	ds_write2_b64 v21, v[25:26], v[18:19] offset0:78 offset1:91
	ds_write2_b64 v21, v[14:15], v[10:11] offset0:104 offset1:117
	ds_write_b64 v21, v[0:1] offset:1040
	s_waitcnt lgkmcnt(0)
	; wave barrier
	s_waitcnt lgkmcnt(0)
	ds_read2_b64 v[12:15], v33 offset0:143 offset1:169
	ds_read2_b64 v[4:7], v33 offset0:26 offset1:52
	;; [unrolled: 1-line block ×4, first 2 shown]
	ds_read_b64 v[24:25], v32
	ds_read_b64 v[26:27], v33 offset:1976
	s_and_saveexec_b64 s[2:3], s[0:1]
	s_cbranch_execz .LBB0_15
; %bb.14:
	v_add_u32_e32 v0, 0x400, v33
	ds_read2_b64 v[0:3], v0 offset0:2 offset1:145
	v_add_u32_e32 v20, 0x82, v30
.LBB0_15:
	s_or_b64 exec, exec, s[2:3]
	v_mov_b32_e32 v31, v22
	v_lshlrev_b64 v[22:23], 3, v[30:31]
	v_mov_b32_e32 v21, s9
	v_add_co_u32_e64 v30, s[2:3], s8, v22
	v_addc_co_u32_e64 v31, s[2:3], v21, v23, s[2:3]
	global_load_dwordx2 v[36:37], v[30:31], off offset:1040
	global_load_dwordx2 v[38:39], v[30:31], off offset:1248
	;; [unrolled: 1-line block ×5, first 2 shown]
	v_lshl_add_u32 v21, v34, 3, v35
	s_waitcnt lgkmcnt(0)
	; wave barrier
	s_waitcnt vmcnt(4) lgkmcnt(0)
	v_mul_f32_e32 v30, v37, v13
	v_mul_f32_e32 v31, v37, v12
	s_waitcnt vmcnt(3)
	v_mul_f32_e32 v34, v39, v15
	v_mul_f32_e32 v35, v39, v14
	s_waitcnt vmcnt(2)
	;; [unrolled: 3-line block ×4, first 2 shown]
	v_mul_f32_e32 v46, v45, v27
	v_mul_f32_e32 v45, v45, v26
	v_fma_f32 v12, v36, v12, -v30
	v_fmac_f32_e32 v31, v36, v13
	v_fma_f32 v14, v38, v14, -v34
	v_fmac_f32_e32 v35, v38, v15
	;; [unrolled: 2-line block ×5, first 2 shown]
	v_sub_f32_e32 v12, v24, v12
	v_sub_f32_e32 v13, v25, v31
	;; [unrolled: 1-line block ×10, first 2 shown]
	v_fma_f32 v24, v24, 2.0, -v12
	v_fma_f32 v25, v25, 2.0, -v13
	;; [unrolled: 1-line block ×10, first 2 shown]
	ds_write2_b64 v21, v[14:15], v[16:17] offset0:169 offset1:195
	ds_write2_b64 v33, v[24:25], v[4:5] offset1:26
	ds_write2_b64 v33, v[6:7], v[8:9] offset0:52 offset1:78
	ds_write2_b64 v33, v[10:11], v[12:13] offset0:104 offset1:143
	;; [unrolled: 1-line block ×3, first 2 shown]
	s_and_saveexec_b64 s[2:3], s[0:1]
	s_cbranch_execz .LBB0_17
; %bb.16:
	v_mov_b32_e32 v21, 0
	v_lshlrev_b64 v[4:5], 3, v[20:21]
	v_mov_b32_e32 v6, s9
	v_add_co_u32_e64 v4, s[0:1], s8, v4
	v_addc_co_u32_e64 v5, s[0:1], v6, v5, s[0:1]
	global_load_dwordx2 v[4:5], v[4:5], off offset:1040
	s_waitcnt vmcnt(0)
	v_mul_f32_e32 v6, v2, v5
	v_mul_f32_e32 v5, v3, v5
	v_fmac_f32_e32 v6, v3, v4
	v_fma_f32 v2, v2, v4, -v5
	v_sub_f32_e32 v3, v1, v6
	v_sub_f32_e32 v2, v0, v2
	v_fma_f32 v1, v1, 2.0, -v3
	v_fma_f32 v0, v0, 2.0, -v2
	v_add_u32_e32 v4, 0x400, v33
	ds_write2_b64 v4, v[0:1], v[2:3] offset0:2 offset1:145
.LBB0_17:
	s_or_b64 exec, exec, s[2:3]
	s_waitcnt lgkmcnt(0)
	; wave barrier
	s_waitcnt lgkmcnt(0)
	s_and_saveexec_b64 s[0:1], vcc
	s_cbranch_execz .LBB0_19
; %bb.18:
	ds_read2_b64 v[0:3], v32 offset1:26
	v_mov_b32_e32 v4, s13
	v_add_co_u32_e32 v8, vcc, s12, v28
	v_addc_co_u32_e32 v9, vcc, v4, v29, vcc
	ds_read2_b64 v[4:7], v32 offset0:52 offset1:78
	v_add_co_u32_e32 v12, vcc, v8, v22
	v_addc_co_u32_e32 v13, vcc, v9, v23, vcc
	s_waitcnt lgkmcnt(1)
	global_store_dwordx2 v[12:13], v[0:1], off
	ds_read2_b64 v[8:11], v32 offset0:104 offset1:130
	global_store_dwordx2 v[12:13], v[2:3], off offset:208
	s_waitcnt lgkmcnt(1)
	global_store_dwordx2 v[12:13], v[4:5], off offset:416
	global_store_dwordx2 v[12:13], v[6:7], off offset:624
	ds_read2_b64 v[0:3], v32 offset0:156 offset1:182
	ds_read2_b64 v[4:7], v32 offset0:208 offset1:234
	s_waitcnt lgkmcnt(2)
	global_store_dwordx2 v[12:13], v[8:9], off offset:832
	ds_read_b64 v[8:9], v32 offset:2080
	global_store_dwordx2 v[12:13], v[10:11], off offset:1040
	s_waitcnt lgkmcnt(2)
	global_store_dwordx2 v[12:13], v[0:1], off offset:1248
	global_store_dwordx2 v[12:13], v[2:3], off offset:1456
	s_waitcnt lgkmcnt(1)
	global_store_dwordx2 v[12:13], v[4:5], off offset:1664
	;; [unrolled: 3-line block ×3, first 2 shown]
.LBB0_19:
	s_endpgm
	.section	.rodata,"a",@progbits
	.p2align	6, 0x0
	.amdhsa_kernel fft_rtc_fwd_len286_factors_13_11_2_wgs_52_tpt_26_sp_ip_CI_unitstride_sbrr_dirReg
		.amdhsa_group_segment_fixed_size 0
		.amdhsa_private_segment_fixed_size 0
		.amdhsa_kernarg_size 88
		.amdhsa_user_sgpr_count 6
		.amdhsa_user_sgpr_private_segment_buffer 1
		.amdhsa_user_sgpr_dispatch_ptr 0
		.amdhsa_user_sgpr_queue_ptr 0
		.amdhsa_user_sgpr_kernarg_segment_ptr 1
		.amdhsa_user_sgpr_dispatch_id 0
		.amdhsa_user_sgpr_flat_scratch_init 0
		.amdhsa_user_sgpr_private_segment_size 0
		.amdhsa_uses_dynamic_stack 0
		.amdhsa_system_sgpr_private_segment_wavefront_offset 0
		.amdhsa_system_sgpr_workgroup_id_x 1
		.amdhsa_system_sgpr_workgroup_id_y 0
		.amdhsa_system_sgpr_workgroup_id_z 0
		.amdhsa_system_sgpr_workgroup_info 0
		.amdhsa_system_vgpr_workitem_id 0
		.amdhsa_next_free_vgpr 110
		.amdhsa_next_free_sgpr 22
		.amdhsa_reserve_vcc 1
		.amdhsa_reserve_flat_scratch 0
		.amdhsa_float_round_mode_32 0
		.amdhsa_float_round_mode_16_64 0
		.amdhsa_float_denorm_mode_32 3
		.amdhsa_float_denorm_mode_16_64 3
		.amdhsa_dx10_clamp 1
		.amdhsa_ieee_mode 1
		.amdhsa_fp16_overflow 0
		.amdhsa_exception_fp_ieee_invalid_op 0
		.amdhsa_exception_fp_denorm_src 0
		.amdhsa_exception_fp_ieee_div_zero 0
		.amdhsa_exception_fp_ieee_overflow 0
		.amdhsa_exception_fp_ieee_underflow 0
		.amdhsa_exception_fp_ieee_inexact 0
		.amdhsa_exception_int_div_zero 0
	.end_amdhsa_kernel
	.text
.Lfunc_end0:
	.size	fft_rtc_fwd_len286_factors_13_11_2_wgs_52_tpt_26_sp_ip_CI_unitstride_sbrr_dirReg, .Lfunc_end0-fft_rtc_fwd_len286_factors_13_11_2_wgs_52_tpt_26_sp_ip_CI_unitstride_sbrr_dirReg
                                        ; -- End function
	.section	.AMDGPU.csdata,"",@progbits
; Kernel info:
; codeLenInByte = 7476
; NumSgprs: 26
; NumVgprs: 110
; ScratchSize: 0
; MemoryBound: 0
; FloatMode: 240
; IeeeMode: 1
; LDSByteSize: 0 bytes/workgroup (compile time only)
; SGPRBlocks: 3
; VGPRBlocks: 27
; NumSGPRsForWavesPerEU: 26
; NumVGPRsForWavesPerEU: 110
; Occupancy: 2
; WaveLimiterHint : 1
; COMPUTE_PGM_RSRC2:SCRATCH_EN: 0
; COMPUTE_PGM_RSRC2:USER_SGPR: 6
; COMPUTE_PGM_RSRC2:TRAP_HANDLER: 0
; COMPUTE_PGM_RSRC2:TGID_X_EN: 1
; COMPUTE_PGM_RSRC2:TGID_Y_EN: 0
; COMPUTE_PGM_RSRC2:TGID_Z_EN: 0
; COMPUTE_PGM_RSRC2:TIDIG_COMP_CNT: 0
	.type	__hip_cuid_5f87b611eba156e5,@object ; @__hip_cuid_5f87b611eba156e5
	.section	.bss,"aw",@nobits
	.globl	__hip_cuid_5f87b611eba156e5
__hip_cuid_5f87b611eba156e5:
	.byte	0                               ; 0x0
	.size	__hip_cuid_5f87b611eba156e5, 1

	.ident	"AMD clang version 19.0.0git (https://github.com/RadeonOpenCompute/llvm-project roc-6.4.0 25133 c7fe45cf4b819c5991fe208aaa96edf142730f1d)"
	.section	".note.GNU-stack","",@progbits
	.addrsig
	.addrsig_sym __hip_cuid_5f87b611eba156e5
	.amdgpu_metadata
---
amdhsa.kernels:
  - .args:
      - .actual_access:  read_only
        .address_space:  global
        .offset:         0
        .size:           8
        .value_kind:     global_buffer
      - .offset:         8
        .size:           8
        .value_kind:     by_value
      - .actual_access:  read_only
        .address_space:  global
        .offset:         16
        .size:           8
        .value_kind:     global_buffer
      - .actual_access:  read_only
        .address_space:  global
        .offset:         24
        .size:           8
        .value_kind:     global_buffer
      - .offset:         32
        .size:           8
        .value_kind:     by_value
      - .actual_access:  read_only
        .address_space:  global
        .offset:         40
        .size:           8
        .value_kind:     global_buffer
      - .actual_access:  read_only
        .address_space:  global
        .offset:         48
        .size:           8
        .value_kind:     global_buffer
      - .offset:         56
        .size:           4
        .value_kind:     by_value
      - .actual_access:  read_only
        .address_space:  global
        .offset:         64
        .size:           8
        .value_kind:     global_buffer
      - .actual_access:  read_only
        .address_space:  global
        .offset:         72
        .size:           8
        .value_kind:     global_buffer
      - .address_space:  global
        .offset:         80
        .size:           8
        .value_kind:     global_buffer
    .group_segment_fixed_size: 0
    .kernarg_segment_align: 8
    .kernarg_segment_size: 88
    .language:       OpenCL C
    .language_version:
      - 2
      - 0
    .max_flat_workgroup_size: 52
    .name:           fft_rtc_fwd_len286_factors_13_11_2_wgs_52_tpt_26_sp_ip_CI_unitstride_sbrr_dirReg
    .private_segment_fixed_size: 0
    .sgpr_count:     26
    .sgpr_spill_count: 0
    .symbol:         fft_rtc_fwd_len286_factors_13_11_2_wgs_52_tpt_26_sp_ip_CI_unitstride_sbrr_dirReg.kd
    .uniform_work_group_size: 1
    .uses_dynamic_stack: false
    .vgpr_count:     110
    .vgpr_spill_count: 0
    .wavefront_size: 64
amdhsa.target:   amdgcn-amd-amdhsa--gfx906
amdhsa.version:
  - 1
  - 2
...

	.end_amdgpu_metadata
